;; amdgpu-corpus repo=ROCm/rocFFT kind=compiled arch=gfx1030 opt=O3
	.text
	.amdgcn_target "amdgcn-amd-amdhsa--gfx1030"
	.amdhsa_code_object_version 6
	.protected	bluestein_single_back_len220_dim1_sp_op_CI_CI ; -- Begin function bluestein_single_back_len220_dim1_sp_op_CI_CI
	.globl	bluestein_single_back_len220_dim1_sp_op_CI_CI
	.p2align	8
	.type	bluestein_single_back_len220_dim1_sp_op_CI_CI,@function
bluestein_single_back_len220_dim1_sp_op_CI_CI: ; @bluestein_single_back_len220_dim1_sp_op_CI_CI
; %bb.0:
	s_load_dwordx4 s[8:11], s[4:5], 0x28
	v_mul_u32_u24_e32 v1, 0xba3, v0
	s_mov_b32 s0, exec_lo
	v_lshrrev_b32_e32 v1, 16, v1
	v_mad_u64_u32 v[40:41], null, s6, 5, v[1:2]
	v_mov_b32_e32 v41, 0
	s_waitcnt lgkmcnt(0)
	v_cmpx_gt_u64_e64 s[8:9], v[40:41]
	s_cbranch_execz .LBB0_10
; %bb.1:
	s_clause 0x1
	s_load_dwordx4 s[0:3], s[4:5], 0x18
	s_load_dwordx4 s[12:15], s[4:5], 0x0
	v_mul_lo_u16 v1, v1, 22
	v_mov_b32_e32 v25, 3
	v_sub_nc_u16 v20, v0, v1
	v_and_b32_e32 v75, 0xffff, v20
	v_add_nc_u16 v26, v20, 22
	v_add_nc_u16 v27, v20, 44
	v_and_b32_e32 v23, 0xff, v20
	v_add_nc_u16 v28, v20, 0x42
	v_lshlrev_b32_e32 v78, 3, v75
	v_and_b32_e32 v24, 0xff, v26
	v_add_nc_u16 v29, v20, 0x58
	s_waitcnt lgkmcnt(0)
	s_load_dwordx4 s[16:19], s[0:1], 0x0
	s_clause 0x7
	global_load_dwordx2 v[57:58], v78, s[12:13]
	global_load_dwordx2 v[59:60], v78, s[12:13] offset:176
	global_load_dwordx2 v[51:52], v78, s[12:13] offset:352
	;; [unrolled: 1-line block ×7, first 2 shown]
	v_and_b32_e32 v30, 0xff, v27
	v_and_b32_e32 v31, 0xff, v28
	;; [unrolled: 1-line block ×3, first 2 shown]
	s_waitcnt lgkmcnt(0)
	v_mad_u64_u32 v[0:1], null, s18, v40, 0
	v_mad_u64_u32 v[2:3], null, s16, v75, 0
	s_mul_i32 s0, s17, 0xb0
	s_mul_hi_u32 s1, s16, 0xb0
	s_mul_i32 s6, s16, 0xb0
	s_add_i32 s1, s1, s0
	v_mad_u64_u32 v[4:5], null, s19, v40, v[1:2]
	v_mad_u64_u32 v[5:6], null, s17, v75, v[3:4]
	v_mov_b32_e32 v1, v4
	v_lshlrev_b64 v[0:1], 3, v[0:1]
	v_mov_b32_e32 v3, v5
	v_add_co_u32 v0, vcc_lo, s10, v0
	v_lshlrev_b64 v[2:3], 3, v[2:3]
	v_add_co_ci_u32_e32 v1, vcc_lo, s11, v1, vcc_lo
	v_add_co_u32 v0, vcc_lo, v0, v2
	v_add_co_ci_u32_e32 v1, vcc_lo, v1, v3, vcc_lo
	v_add_co_u32 v2, vcc_lo, v0, s6
	v_add_co_ci_u32_e32 v3, vcc_lo, s1, v1, vcc_lo
	global_load_dwordx2 v[12:13], v[0:1], off
	v_add_co_u32 v4, vcc_lo, v2, s6
	v_add_co_ci_u32_e32 v5, vcc_lo, s1, v3, vcc_lo
	s_clause 0x1
	global_load_dwordx2 v[14:15], v[2:3], off
	global_load_dwordx2 v[6:7], v[4:5], off
	v_add_co_u32 v8, vcc_lo, v4, s6
	v_add_co_ci_u32_e32 v9, vcc_lo, s1, v5, vcc_lo
	v_add_co_u32 v0, vcc_lo, v8, s6
	v_add_co_ci_u32_e32 v1, vcc_lo, s1, v9, vcc_lo
	s_clause 0x1
	global_load_dwordx2 v[8:9], v[8:9], off
	global_load_dwordx2 v[4:5], v[0:1], off
	v_add_co_u32 v2, vcc_lo, v0, s6
	v_add_co_ci_u32_e32 v3, vcc_lo, s1, v1, vcc_lo
	v_add_co_u32 v10, vcc_lo, v2, s6
	v_add_co_ci_u32_e32 v11, vcc_lo, s1, v3, vcc_lo
	global_load_dwordx2 v[0:1], v[2:3], off
	v_add_co_u32 v16, vcc_lo, v10, s6
	v_add_co_ci_u32_e32 v17, vcc_lo, s1, v11, vcc_lo
	global_load_dwordx2 v[2:3], v[10:11], off
	;; [unrolled: 3-line block ×4, first 2 shown]
	s_clause 0x1
	global_load_dwordx2 v[47:48], v78, s[12:13] offset:1408
	global_load_dwordx2 v[49:50], v78, s[12:13] offset:1584
	global_load_dwordx2 v[18:19], v[21:22], off
	v_mul_hi_u32 v21, 0xcccccccd, v40
	v_mul_lo_u16 v22, v20, 10
	s_load_dwordx4 s[8:11], s[2:3], 0x0
	s_load_dwordx2 s[2:3], s[4:5], 0x38
	v_cmp_gt_u16_e32 vcc_lo, 20, v20
	v_and_b32_e32 v33, 0xffff, v22
	v_mul_lo_u16 v22, 0xcd, v23
	v_lshrrev_b32_e32 v21, 2, v21
	v_mul_lo_u16 v23, 0xcd, v24
	v_mul_lo_u16 v24, 0xcd, v30
	;; [unrolled: 1-line block ×4, first 2 shown]
	v_lshl_add_u32 v21, v21, 2, v21
	v_lshrrev_b16 v34, 11, v23
	v_lshrrev_b16 v32, 11, v22
	;; [unrolled: 1-line block ×4, first 2 shown]
	v_sub_nc_u32_e32 v21, v40, v21
	v_lshrrev_b16 v31, 11, v31
	v_mul_u32_u24_e32 v21, 0xdc, v21
	v_lshlrev_b32_e32 v77, 3, v21
	v_add_nc_u32_e32 v76, v78, v77
	v_lshl_add_u32 v79, v33, 3, v77
	s_waitcnt vmcnt(11)
	v_mul_f32_e32 v21, v13, v58
	v_mul_f32_e32 v22, v12, v58
	v_fmac_f32_e32 v21, v12, v57
	s_waitcnt vmcnt(10)
	v_mul_f32_e32 v23, v15, v60
	v_mul_f32_e32 v24, v14, v60
	s_waitcnt vmcnt(9)
	v_mul_f32_e32 v12, v7, v52
	v_fma_f32 v22, v13, v57, -v22
	v_mul_f32_e32 v13, v6, v52
	v_fmac_f32_e32 v23, v14, v59
	v_fma_f32 v24, v15, v59, -v24
	v_fmac_f32_e32 v12, v6, v51
	v_fma_f32 v13, v7, v51, -v13
	s_waitcnt vmcnt(8)
	v_mul_f32_e32 v6, v9, v56
	s_waitcnt vmcnt(7)
	v_mul_f32_e32 v14, v5, v54
	v_mul_f32_e32 v15, v8, v56
	;; [unrolled: 1-line block ×3, first 2 shown]
	v_fmac_f32_e32 v6, v8, v55
	v_fmac_f32_e32 v14, v4, v53
	v_fma_f32 v7, v9, v55, -v15
	v_fma_f32 v15, v5, v53, -v36
	s_waitcnt vmcnt(6)
	v_mul_f32_e32 v4, v1, v44
	v_mul_f32_e32 v5, v0, v44
	s_waitcnt vmcnt(5)
	v_mul_f32_e32 v8, v3, v46
	v_mul_f32_e32 v9, v2, v46
	v_fmac_f32_e32 v4, v0, v43
	v_fma_f32 v5, v1, v43, -v5
	s_waitcnt vmcnt(4)
	v_mul_f32_e32 v0, v11, v42
	v_fmac_f32_e32 v8, v2, v45
	v_fma_f32 v9, v3, v45, -v9
	v_mul_f32_e32 v1, v10, v42
	s_waitcnt vmcnt(2)
	v_mul_f32_e32 v2, v17, v48
	v_fmac_f32_e32 v0, v10, v41
	v_mul_f32_e32 v3, v16, v48
	s_waitcnt vmcnt(0)
	v_mul_f32_e32 v10, v19, v50
	v_mul_f32_e32 v36, v18, v50
	v_fma_f32 v1, v11, v41, -v1
	v_fmac_f32_e32 v2, v16, v47
	v_fma_f32 v3, v17, v47, -v3
	v_fmac_f32_e32 v10, v18, v49
	v_fma_f32 v11, v19, v49, -v36
	v_mul_lo_u16 v16, v32, 10
	v_mul_lo_u16 v17, v34, 10
	;; [unrolled: 1-line block ×4, first 2 shown]
	ds_write2_b64 v76, v[21:22], v[23:24] offset1:22
	ds_write2_b64 v76, v[12:13], v[6:7] offset0:44 offset1:66
	ds_write2_b64 v76, v[14:15], v[4:5] offset0:88 offset1:110
	;; [unrolled: 1-line block ×4, first 2 shown]
	s_waitcnt lgkmcnt(0)
	s_barrier
	buffer_gl0_inv
	ds_read2_b64 v[0:3], v76 offset1:22
	ds_read2_b64 v[4:7], v76 offset0:44 offset1:66
	ds_read2_b64 v[8:11], v76 offset0:88 offset1:110
	;; [unrolled: 1-line block ×3, first 2 shown]
	v_sub_nc_u16 v22, v20, v16
	v_sub_nc_u16 v23, v26, v17
	;; [unrolled: 1-line block ×4, first 2 shown]
	ds_read2_b64 v[16:19], v76 offset0:176 offset1:198
	v_mul_lo_u16 v21, v31, 10
	v_lshlrev_b32_sdwa v27, v25, v23 dst_sel:DWORD dst_unused:UNUSED_PAD src0_sel:DWORD src1_sel:BYTE_0
	v_lshlrev_b32_sdwa v28, v25, v24 dst_sel:DWORD dst_unused:UNUSED_PAD src0_sel:DWORD src1_sel:BYTE_0
	s_waitcnt lgkmcnt(0)
	s_barrier
	v_sub_nc_u16 v21, v29, v21
	v_lshlrev_b32_sdwa v29, v25, v26 dst_sel:DWORD dst_unused:UNUSED_PAD src0_sel:DWORD src1_sel:BYTE_0
	buffer_gl0_inv
	v_add_f32_e32 v33, v0, v4
	v_add_f32_e32 v61, v1, v5
	;; [unrolled: 1-line block ×4, first 2 shown]
	v_sub_f32_e32 v70, v10, v6
	v_add_f32_e32 v71, v3, v7
	v_add_f32_e32 v72, v11, v15
	v_sub_f32_e32 v74, v7, v11
	v_sub_f32_e32 v80, v11, v7
	;; [unrolled: 1-line block ×3, first 2 shown]
	v_add_f32_e32 v84, v6, v18
	v_add_f32_e32 v7, v7, v19
	v_sub_f32_e32 v90, v14, v18
	v_add_f32_e32 v36, v8, v12
	v_sub_f32_e32 v37, v9, v13
	v_sub_f32_e32 v38, v4, v8
	;; [unrolled: 1-line block ×3, first 2 shown]
	v_add_f32_e32 v62, v9, v13
	v_sub_f32_e32 v63, v8, v12
	v_sub_f32_e32 v64, v5, v9
	v_sub_f32_e32 v65, v9, v5
	v_sub_f32_e32 v68, v11, v15
	v_sub_f32_e32 v69, v6, v10
	v_sub_f32_e32 v73, v10, v14
	v_sub_f32_e32 v81, v5, v17
	v_add_f32_e32 v5, v5, v17
	v_add_f32_e32 v8, v33, v8
	;; [unrolled: 1-line block ×5, first 2 shown]
	v_fma_f32 v61, -0.5, v72, v3
	v_fmac_f32_e32 v3, -0.5, v7
	v_fma_f32 v70, -0.5, v84, v2
	v_fma_f32 v2, -0.5, v67, v2
	v_sub_f32_e32 v6, v6, v18
	v_add_f32_e32 v82, v4, v16
	v_sub_f32_e32 v85, v16, v12
	v_sub_f32_e32 v86, v12, v16
	;; [unrolled: 1-line block ×6, first 2 shown]
	v_add_f32_e32 v11, v71, v11
	v_fma_f32 v62, -0.5, v62, v1
	v_fma_f32 v72, -0.5, v5, v1
	v_add_f32_e32 v1, v9, v13
	v_add_f32_e32 v7, v10, v14
	v_fmamk_f32 v9, v68, 0xbf737871, v70
	v_fmac_f32_e32 v70, 0x3f737871, v68
	v_fmamk_f32 v10, v73, 0x3f737871, v3
	v_fmamk_f32 v13, v83, 0x3f737871, v2
	v_fma_f32 v36, -0.5, v36, v0
	v_fmac_f32_e32 v3, 0xbf737871, v73
	v_fmac_f32_e32 v2, 0xbf737871, v83
	v_sub_f32_e32 v91, v19, v15
	v_fmamk_f32 v14, v6, 0xbf737871, v61
	v_fmac_f32_e32 v61, 0x3f737871, v6
	v_sub_f32_e32 v4, v4, v16
	v_add_f32_e32 v66, v80, v92
	v_fma_f32 v71, -0.5, v82, v0
	v_add_f32_e32 v5, v38, v85
	v_add_f32_e32 v38, v39, v86
	;; [unrolled: 1-line block ×5, first 2 shown]
	v_fmac_f32_e32 v70, 0xbf167918, v83
	v_fmac_f32_e32 v13, 0x3f167918, v68
	;; [unrolled: 1-line block ×3, first 2 shown]
	v_fmamk_f32 v11, v81, 0x3f737871, v36
	v_fmac_f32_e32 v36, 0xbf737871, v81
	v_fmac_f32_e32 v3, 0x3f167918, v6
	;; [unrolled: 1-line block ×4, first 2 shown]
	v_add_f32_e32 v67, v74, v91
	v_fmac_f32_e32 v61, 0x3f167918, v73
	v_fmamk_f32 v12, v37, 0xbf737871, v71
	v_fmac_f32_e32 v71, 0x3f737871, v37
	v_fmamk_f32 v15, v4, 0xbf737871, v62
	v_fmamk_f32 v69, v63, 0x3f737871, v72
	v_fmac_f32_e32 v72, 0xbf737871, v63
	v_add_f32_e32 v16, v0, v16
	v_add_f32_e32 v17, v1, v17
	;; [unrolled: 1-line block ×4, first 2 shown]
	v_fmac_f32_e32 v14, 0xbf167918, v73
	v_fmac_f32_e32 v70, 0x3e9e377a, v33
	v_fmac_f32_e32 v10, 0x3e9e377a, v66
	v_fmac_f32_e32 v13, 0x3e9e377a, v39
	v_fmac_f32_e32 v11, 0x3f167918, v37
	v_fmac_f32_e32 v36, 0xbf167918, v37
	v_fmac_f32_e32 v3, 0x3e9e377a, v66
	v_fmac_f32_e32 v2, 0x3e9e377a, v39
	v_fmac_f32_e32 v9, 0x3e9e377a, v33
	v_fmac_f32_e32 v62, 0x3f737871, v4
	v_fmac_f32_e32 v61, 0x3e9e377a, v67
	v_add_f32_e32 v64, v64, v87
	v_fmac_f32_e32 v12, 0x3f167918, v81
	v_fmac_f32_e32 v71, 0xbf167918, v81
	;; [unrolled: 1-line block ×5, first 2 shown]
	v_add_f32_e32 v0, v16, v7
	v_add_f32_e32 v1, v17, v8
	v_sub_f32_e32 v6, v16, v7
	v_sub_f32_e32 v7, v17, v8
	v_fmac_f32_e32 v14, 0x3e9e377a, v67
	v_mul_f32_e32 v4, 0x3e9e377a, v70
	v_mul_f32_e32 v8, 0x3f4f1bbd, v13
	;; [unrolled: 1-line block ×4, first 2 shown]
	v_add_f32_e32 v65, v65, v88
	v_fmac_f32_e32 v11, 0x3e9e377a, v5
	v_fmac_f32_e32 v36, 0x3e9e377a, v5
	v_mul_f32_e32 v5, 0x3e9e377a, v3
	v_mul_f32_e32 v17, 0x3f4f1bbd, v2
	;; [unrolled: 1-line block ×3, first 2 shown]
	v_fmac_f32_e32 v62, 0x3f167918, v63
	v_mul_f32_e32 v18, 0x3f4f1bbd, v61
	v_fmac_f32_e32 v12, 0x3e9e377a, v38
	v_fmac_f32_e32 v71, 0x3e9e377a, v38
	;; [unrolled: 1-line block ×3, first 2 shown]
	v_fma_f32 v3, 0x3f737871, v3, -v4
	v_fmac_f32_e32 v8, 0x3f167918, v14
	v_fmac_f32_e32 v16, 0x3e9e377a, v9
	;; [unrolled: 1-line block ×5, first 2 shown]
	v_fma_f32 v9, 0x3f167918, v61, -v17
	v_fmac_f32_e32 v19, 0x3e9e377a, v10
	v_fma_f32 v17, 0xbf737871, v70, -v5
	v_fmac_f32_e32 v62, 0x3e9e377a, v64
	v_fma_f32 v33, 0xbf167918, v2, -v18
	v_add_f32_e32 v2, v11, v8
	v_sub_f32_e32 v10, v12, v16
	v_add_f32_e32 v12, v12, v16
	v_add_f32_e32 v14, v71, v3
	v_sub_f32_e32 v16, v71, v3
	v_add_f32_e32 v3, v15, v13
	v_add_f32_e32 v4, v36, v9
	v_sub_f32_e32 v18, v36, v9
	v_sub_f32_e32 v9, v15, v13
	v_add_f32_e32 v13, v69, v19
	v_add_f32_e32 v15, v72, v17
	;; [unrolled: 1-line block ×3, first 2 shown]
	v_sub_f32_e32 v8, v11, v8
	v_sub_f32_e32 v11, v69, v19
	;; [unrolled: 1-line block ×4, first 2 shown]
	ds_write_b128 v79, v[0:3]
	ds_write_b128 v79, v[12:15] offset:16
	ds_write_b128 v79, v[4:7] offset:32
	ds_write_b128 v79, v[8:11] offset:48
	ds_write_b128 v79, v[16:19] offset:64
	v_lshlrev_b32_sdwa v0, v25, v21 dst_sel:DWORD dst_unused:UNUSED_PAD src0_sel:DWORD src1_sel:BYTE_0
	v_lshlrev_b32_sdwa v1, v25, v22 dst_sel:DWORD dst_unused:UNUSED_PAD src0_sel:DWORD src1_sel:BYTE_0
	s_waitcnt lgkmcnt(0)
	s_barrier
	buffer_gl0_inv
	s_clause 0x4
	global_load_dwordx2 v[63:64], v27, s[14:15]
	global_load_dwordx2 v[65:66], v28, s[14:15]
	;; [unrolled: 1-line block ×5, first 2 shown]
	v_mov_b32_e32 v4, 20
	v_mad_u16 v9, v32, 20, v22
	ds_read2_b64 v[0:3], v76 offset0:132 offset1:154
	v_mad_u16 v12, v34, 20, v23
	v_add_co_u32 v73, s0, s12, v78
	v_mul_u32_u24_sdwa v5, v35, v4 dst_sel:DWORD dst_unused:UNUSED_PAD src0_sel:WORD_0 src1_sel:DWORD
	v_mul_u32_u24_sdwa v8, v30, v4 dst_sel:DWORD dst_unused:UNUSED_PAD src0_sel:WORD_0 src1_sel:DWORD
	;; [unrolled: 1-line block ×3, first 2 shown]
	v_and_b32_e32 v14, 0xff, v9
	v_and_b32_e32 v12, 0xff, v12
	v_add_nc_u32_sdwa v13, v5, v24 dst_sel:DWORD dst_unused:UNUSED_PAD src0_sel:DWORD src1_sel:BYTE_0
	ds_read2_b64 v[4:7], v76 offset0:176 offset1:198
	v_add_nc_u32_sdwa v15, v8, v26 dst_sel:DWORD dst_unused:UNUSED_PAD src0_sel:DWORD src1_sel:BYTE_0
	v_add_nc_u32_sdwa v16, v10, v21 dst_sel:DWORD dst_unused:UNUSED_PAD src0_sel:DWORD src1_sel:BYTE_0
	ds_read2_b64 v[8:11], v76 offset0:88 offset1:110
	v_lshl_add_u32 v84, v14, 3, v77
	v_lshl_add_u32 v82, v13, 3, v77
	;; [unrolled: 1-line block ×5, first 2 shown]
	ds_read2_b64 v[12:15], v76 offset1:22
	ds_read2_b64 v[16:19], v76 offset0:44 offset1:66
	v_add_co_ci_u32_e64 v74, null, s13, 0, s0
	s_waitcnt vmcnt(0) lgkmcnt(0)
	s_barrier
	buffer_gl0_inv
                                        ; implicit-def: $vgpr71
	v_mul_f32_e32 v20, v1, v64
	v_mul_f32_e32 v21, v0, v64
	;; [unrolled: 1-line block ×10, first 2 shown]
	v_fma_f32 v0, v0, v63, -v20
	v_fmac_f32_e32 v21, v1, v63
	v_fma_f32 v1, v2, v65, -v22
	v_fmac_f32_e32 v24, v3, v65
	v_fma_f32 v2, v4, v67, -v23
	v_fma_f32 v3, v10, v69, -v27
	v_fmac_f32_e32 v29, v11, v69
	v_fmac_f32_e32 v25, v5, v67
	v_fma_f32 v4, v6, v61, -v26
	v_fmac_f32_e32 v28, v7, v61
	v_sub_f32_e32 v22, v12, v3
	v_sub_f32_e32 v23, v13, v29
	;; [unrolled: 1-line block ×10, first 2 shown]
	v_fma_f32 v20, v12, 2.0, -v22
	v_fma_f32 v21, v13, 2.0, -v23
	;; [unrolled: 1-line block ×10, first 2 shown]
	ds_write2_b64 v84, v[20:21], v[22:23] offset1:10
	ds_write2_b64 v83, v[24:25], v[26:27] offset1:10
	;; [unrolled: 1-line block ×5, first 2 shown]
	s_waitcnt lgkmcnt(0)
	s_barrier
	buffer_gl0_inv
	s_and_saveexec_b32 s0, vcc_lo
	s_cbranch_execz .LBB0_3
; %bb.2:
	ds_read2_b64 v[20:23], v76 offset1:20
	ds_read2_b64 v[24:27], v76 offset0:40 offset1:60
	ds_read2_b64 v[28:31], v76 offset0:80 offset1:100
	;; [unrolled: 1-line block ×4, first 2 shown]
	ds_read_b64 v[71:72], v76 offset:1600
.LBB0_3:
	s_or_b32 exec_lo, exec_lo, s0
	v_subrev_nc_u32_e32 v0, 20, v75
	v_cndmask_b32_e32 v0, v0, v75, vcc_lo
	v_mul_i32_i24_e32 v1, 0x50, v0
	v_mul_hi_i32_i24_e32 v0, 0x50, v0
	v_add_co_u32 v16, s0, s14, v1
	v_add_co_ci_u32_e64 v17, s0, s15, v0, s0
	s_clause 0x4
	global_load_dwordx4 v[12:15], v[16:17], off offset:80
	global_load_dwordx4 v[4:7], v[16:17], off offset:96
	;; [unrolled: 1-line block ×5, first 2 shown]
	s_waitcnt vmcnt(4) lgkmcnt(5)
	v_mul_f32_e32 v94, v23, v13
	v_mul_f32_e32 v95, v22, v13
	s_waitcnt vmcnt(2) lgkmcnt(3)
	v_mul_f32_e32 v90, v30, v1
	v_mul_f32_e32 v96, v25, v15
	;; [unrolled: 3-line block ×3, first 2 shown]
	v_mul_f32_e32 v93, v24, v15
	v_mul_f32_e32 v102, v31, v1
	;; [unrolled: 1-line block ×6, first 2 shown]
	v_fma_f32 v100, v22, v12, -v94
	v_fmac_f32_e32 v95, v23, v12
	v_fmac_f32_e32 v90, v31, v0
	v_fma_f32 v31, v71, v18, -v107
	v_fmac_f32_e32 v86, v72, v18
	v_mul_f32_e32 v97, v27, v5
	v_mul_f32_e32 v92, v26, v5
	;; [unrolled: 1-line block ×7, first 2 shown]
	v_fma_f32 v99, v24, v14, -v96
	v_fmac_f32_e32 v93, v25, v14
	v_fma_f32 v94, v32, v2, -v103
	v_fma_f32 v34, v34, v8, -v104
	;; [unrolled: 1-line block ×3, first 2 shown]
	v_fmac_f32_e32 v85, v39, v16
	v_sub_f32_e32 v110, v100, v31
	v_sub_f32_e32 v104, v95, v86
	v_mul_f32_e32 v101, v29, v7
	v_fma_f32 v98, v26, v4, -v97
	v_fmac_f32_e32 v92, v27, v4
	v_fmac_f32_e32 v91, v29, v6
	v_fma_f32 v96, v30, v0, -v102
	v_fmac_f32_e32 v89, v33, v2
	v_fma_f32 v33, v36, v10, -v105
	v_fmac_f32_e32 v87, v37, v10
	v_add_f32_e32 v22, v100, v31
	v_add_f32_e32 v29, v95, v86
	v_sub_f32_e32 v112, v99, v32
	v_sub_f32_e32 v105, v93, v85
	v_mul_f32_e32 v102, 0xbf0a6770, v104
	v_mul_f32_e32 v115, 0xbf0a6770, v110
	v_fma_f32 v97, v28, v6, -v101
	v_fmac_f32_e32 v88, v35, v8
	v_add_f32_e32 v23, v99, v32
	v_add_f32_e32 v25, v93, v85
	v_sub_f32_e32 v113, v98, v33
	v_sub_f32_e32 v106, v92, v87
	v_mul_f32_e32 v101, 0xbf68dda4, v105
	v_mul_f32_e32 v114, 0xbf68dda4, v112
	v_fmamk_f32 v38, v22, 0x3f575c64, v102
	v_fma_f32 v71, 0x3f575c64, v29, -v115
	v_add_f32_e32 v24, v98, v33
	v_add_f32_e32 v27, v92, v87
	v_sub_f32_e32 v111, v97, v34
	v_sub_f32_e32 v103, v91, v88
	v_mul_f32_e32 v39, 0xbf7d64f0, v106
	v_mul_f32_e32 v108, 0xbf7d64f0, v113
	v_fmamk_f32 v72, v23, 0x3ed4b147, v101
	v_fma_f32 v109, 0x3ed4b147, v25, -v114
	v_add_f32_e32 v117, v20, v38
	v_add_f32_e32 v71, v21, v71
	;; [unrolled: 1-line block ×4, first 2 shown]
	v_sub_f32_e32 v37, v90, v89
	v_sub_f32_e32 v116, v96, v94
	v_mul_f32_e32 v36, 0xbf4178ce, v103
	v_mul_f32_e32 v107, 0xbf4178ce, v111
	v_fmamk_f32 v118, v24, 0xbe11bafb, v39
	v_fma_f32 v119, 0xbe11bafb, v27, -v108
	v_add_f32_e32 v72, v72, v117
	v_add_f32_e32 v71, v109, v71
	;; [unrolled: 1-line block ×4, first 2 shown]
	v_mul_f32_e32 v38, 0xbe903f40, v37
	v_mul_f32_e32 v109, 0xbe903f40, v116
	v_fmamk_f32 v117, v26, 0xbf27a4f4, v36
	v_fma_f32 v120, 0xbf27a4f4, v30, -v107
	v_add_f32_e32 v72, v118, v72
	v_add_f32_e32 v71, v119, v71
	v_fmamk_f32 v118, v28, 0xbf75a155, v38
	v_fma_f32 v119, 0xbf75a155, v35, -v109
	v_add_f32_e32 v72, v117, v72
	v_add_f32_e32 v117, v120, v71
	v_add_f32_e32 v71, v118, v72
	v_add_f32_e32 v72, v119, v117
	s_and_saveexec_b32 s0, vcc_lo
	s_cbranch_execz .LBB0_5
; %bb.4:
	v_mul_f32_e32 v123, 0xbe11bafb, v29
	v_mul_f32_e32 v124, 0xbf75a155, v25
	;; [unrolled: 1-line block ×5, first 2 shown]
	v_fmamk_f32 v117, v110, 0x3f7d64f0, v123
	v_fmamk_f32 v118, v112, 0xbe903f40, v124
	v_mul_f32_e32 v138, 0x3e903f40, v105
	v_fmamk_f32 v119, v22, 0xbe11bafb, v135
	v_mul_f32_e32 v139, 0xbf27a4f4, v35
	v_add_f32_e32 v117, v21, v117
	v_mul_f32_e32 v140, 0x3f68dda4, v106
	v_fmamk_f32 v120, v23, 0xbf75a155, v138
	v_add_f32_e32 v119, v20, v119
	v_mul_f32_e32 v121, 0xbf75a155, v29
	v_add_f32_e32 v117, v118, v117
	v_fmamk_f32 v118, v113, 0xbf68dda4, v132
	v_mul_f32_e32 v141, 0xbf0a6770, v103
	v_add_f32_e32 v119, v120, v119
	v_fmamk_f32 v120, v24, 0x3ed4b147, v140
	;; [unrolled: 3-line block ×4, first 2 shown]
	v_fmamk_f32 v143, v112, 0xbf0a6770, v122
	v_add_f32_e32 v117, v118, v117
	v_fmamk_f32 v118, v116, 0x3f4178ce, v139
	v_mul_f32_e32 v144, 0xbf27a4f4, v27
	v_add_f32_e32 v119, v120, v119
	v_fmamk_f32 v120, v28, 0xbf27a4f4, v142
	v_mul_f32_e32 v145, 0xbe903f40, v104
	v_add_f32_e32 v118, v118, v117
	v_fmamk_f32 v117, v110, 0x3e903f40, v121
	v_fmamk_f32 v146, v113, 0x3f4178ce, v144
	v_mul_f32_e32 v147, 0x3ed4b147, v30
	v_mul_f32_e32 v148, 0x3f0a6770, v105
	;; [unrolled: 1-line block ×3, first 2 shown]
	v_add_f32_e32 v117, v21, v117
	v_fmac_f32_e32 v121, 0xbe903f40, v110
	v_mul_f32_e32 v151, 0x3f68dda4, v103
	v_fmamk_f32 v149, v23, 0x3f575c64, v148
	v_fmac_f32_e32 v122, 0x3f0a6770, v112
	v_add_f32_e32 v143, v143, v117
	v_add_f32_e32 v117, v120, v119
	v_fmamk_f32 v119, v22, 0xbf75a155, v145
	v_add_f32_e32 v121, v21, v121
	v_fma_f32 v145, 0xbf75a155, v22, -v145
	v_add_f32_e32 v120, v146, v143
	v_fmamk_f32 v143, v111, 0xbf68dda4, v147
	v_mul_f32_e32 v146, 0xbe11bafb, v35
	v_add_f32_e32 v119, v20, v119
	v_add_f32_e32 v121, v122, v121
	v_fmac_f32_e32 v144, 0xbf4178ce, v113
	v_add_f32_e32 v120, v143, v120
	v_fmamk_f32 v143, v116, 0x3f7d64f0, v146
	v_add_f32_e32 v119, v149, v119
	v_fmamk_f32 v149, v24, 0xbf27a4f4, v150
	v_add_f32_e32 v121, v144, v121
	v_fmac_f32_e32 v147, 0x3f68dda4, v111
	v_add_f32_e32 v120, v143, v120
	v_fmamk_f32 v143, v26, 0x3ed4b147, v151
	v_add_f32_e32 v119, v149, v119
	v_mul_f32_e32 v149, 0xbf7d64f0, v37
	v_mul_f32_e32 v144, 0xbf4178ce, v110
	v_add_f32_e32 v121, v147, v121
	v_mul_f32_e32 v147, 0x3f7d64f0, v112
	v_add_f32_e32 v119, v143, v119
	v_fmamk_f32 v122, v28, 0xbe11bafb, v149
	v_add_f32_e32 v143, v20, v145
	v_fma_f32 v145, 0x3f575c64, v23, -v148
	v_fmac_f32_e32 v146, 0xbf7d64f0, v116
	v_fma_f32 v148, 0x3ed4b147, v26, -v151
	v_add_f32_e32 v119, v122, v119
	v_mul_f32_e32 v151, 0xbf0a6770, v113
	v_add_f32_e32 v122, v145, v143
	v_fma_f32 v143, 0xbf27a4f4, v24, -v150
	v_fmamk_f32 v145, v29, 0xbf27a4f4, v144
	v_fmamk_f32 v150, v25, 0xbe11bafb, v147
	v_fma_f32 v149, 0xbe11bafb, v28, -v149
	v_mul_f32_e32 v152, 0x3f7d64f0, v105
	v_add_f32_e32 v143, v143, v122
	v_add_f32_e32 v145, v21, v145
	v_add_f32_e32 v122, v146, v121
	v_fmamk_f32 v146, v27, 0x3f575c64, v151
	v_mul_f32_e32 v153, 0xbf0a6770, v106
	v_add_f32_e32 v121, v148, v143
	v_mul_f32_e32 v143, 0xbf4178ce, v104
	v_add_f32_e32 v145, v150, v145
	v_mul_f32_e32 v148, 0xbe903f40, v111
	v_fmac_f32_e32 v123, 0xbf7d64f0, v110
	v_add_f32_e32 v121, v149, v121
	v_fma_f32 v150, 0xbf27a4f4, v22, -v143
	v_add_f32_e32 v145, v146, v145
	v_fmamk_f32 v146, v30, 0xbf75a155, v148
	v_mul_f32_e32 v154, 0xbe903f40, v103
	v_add_f32_e32 v123, v21, v123
	v_add_f32_e32 v149, v20, v150
	v_fma_f32 v150, 0xbe11bafb, v23, -v152
	v_add_f32_e32 v145, v146, v145
	v_mul_f32_e32 v146, 0x3f68dda4, v116
	v_fmac_f32_e32 v124, 0x3e903f40, v112
	v_add_f32_e32 v95, v21, v95
	v_add_f32_e32 v149, v150, v149
	v_fma_f32 v150, 0x3f575c64, v24, -v153
	v_add_f32_e32 v100, v20, v100
	v_fmamk_f32 v155, v35, 0x3ed4b147, v146
	v_add_f32_e32 v123, v124, v123
	v_fmac_f32_e32 v132, 0x3f68dda4, v113
	v_add_f32_e32 v149, v150, v149
	v_fma_f32 v150, 0xbf75a155, v26, -v154
	v_fma_f32 v135, 0xbe11bafb, v22, -v135
	v_add_f32_e32 v93, v95, v93
	v_add_f32_e32 v95, v100, v99
	;; [unrolled: 1-line block ×5, first 2 shown]
	v_fmac_f32_e32 v136, 0xbf0a6770, v111
	v_mul_f32_e32 v150, 0xbf68dda4, v110
	v_add_f32_e32 v110, v20, v135
	v_fma_f32 v135, 0xbf75a155, v23, -v138
	v_add_f32_e32 v92, v93, v92
	v_add_f32_e32 v93, v95, v98
	;; [unrolled: 1-line block ×3, first 2 shown]
	v_fmamk_f32 v136, v29, 0x3ed4b147, v150
	v_mul_f32_e32 v112, 0xbf4178ce, v112
	v_add_f32_e32 v110, v135, v110
	v_fma_f32 v135, 0x3ed4b147, v24, -v140
	v_mul_f32_e32 v125, 0x3f575c64, v22
	v_add_f32_e32 v91, v92, v91
	v_add_f32_e32 v92, v93, v97
	v_mul_f32_e32 v126, 0x3f575c64, v29
	v_add_f32_e32 v136, v21, v136
	v_fmamk_f32 v138, v25, 0xbf27a4f4, v112
	v_mul_f32_e32 v113, 0x3e903f40, v113
	v_add_f32_e32 v110, v135, v110
	v_fma_f32 v135, 0x3f575c64, v26, -v141
	v_mul_f32_e32 v140, 0xbf68dda4, v104
	v_mul_f32_e32 v127, 0x3ed4b147, v23
	v_sub_f32_e32 v93, v125, v102
	v_add_f32_e32 v90, v91, v90
	v_add_f32_e32 v91, v92, v96
	v_mul_f32_e32 v128, 0x3ed4b147, v25
	v_mul_f32_e32 v156, 0x3f68dda4, v37
	v_add_f32_e32 v104, v138, v136
	v_fmamk_f32 v136, v27, 0xbf75a155, v113
	v_mul_f32_e32 v138, 0x3f7d64f0, v111
	v_add_f32_e32 v110, v135, v110
	v_fma_f32 v111, 0x3ed4b147, v22, -v140
	v_mul_f32_e32 v135, 0xbf4178ce, v105
	v_add_f32_e32 v115, v115, v126
	v_mul_f32_e32 v129, 0xbe11bafb, v24
	v_add_f32_e32 v92, v20, v93
	v_sub_f32_e32 v93, v127, v101
	v_add_f32_e32 v89, v90, v89
	v_add_f32_e32 v90, v91, v94
	v_fma_f32 v91, 0xbf27a4f4, v29, -v144
	v_fmac_f32_e32 v143, 0xbf27a4f4, v22
	v_fma_f32 v29, 0x3ed4b147, v29, -v150
	v_fmac_f32_e32 v140, 0x3ed4b147, v22
	v_mul_f32_e32 v130, 0xbe11bafb, v27
	v_fma_f32 v149, 0x3ed4b147, v28, -v156
	v_add_f32_e32 v104, v136, v104
	v_add_f32_e32 v111, v20, v111
	v_fma_f32 v136, 0xbf27a4f4, v23, -v135
	v_mul_f32_e32 v106, 0x3e903f40, v106
	v_add_f32_e32 v115, v21, v115
	v_add_f32_e32 v114, v114, v128
	v_mul_f32_e32 v131, 0xbf27a4f4, v26
	v_add_f32_e32 v92, v93, v92
	v_sub_f32_e32 v39, v129, v39
	v_add_f32_e32 v88, v89, v88
	v_add_f32_e32 v34, v90, v34
	;; [unrolled: 1-line block ×3, first 2 shown]
	v_fma_f32 v90, 0xbe11bafb, v25, -v147
	v_add_f32_e32 v22, v20, v143
	v_fmac_f32_e32 v152, 0xbe11bafb, v23
	v_add_f32_e32 v21, v21, v29
	v_fma_f32 v25, 0xbf27a4f4, v25, -v112
	v_add_f32_e32 v20, v20, v140
	v_fmac_f32_e32 v135, 0xbf27a4f4, v23
	v_mul_f32_e32 v133, 0xbf27a4f4, v30
	v_add_f32_e32 v123, v149, v145
	v_fmamk_f32 v105, v30, 0xbe11bafb, v138
	v_fma_f32 v141, 0xbf27a4f4, v28, -v142
	v_add_f32_e32 v136, v136, v111
	v_fma_f32 v149, 0xbf75a155, v24, -v106
	v_mul_f32_e32 v103, 0x3f7d64f0, v103
	v_mul_f32_e32 v128, 0x3f0a6770, v37
	v_add_f32_e32 v37, v114, v115
	v_add_f32_e32 v99, v108, v130
	;; [unrolled: 1-line block ×3, first 2 shown]
	v_sub_f32_e32 v36, v131, v36
	v_add_f32_e32 v87, v88, v87
	v_add_f32_e32 v33, v34, v33
	;; [unrolled: 1-line block ×3, first 2 shown]
	v_fma_f32 v88, 0x3f575c64, v27, -v151
	v_add_f32_e32 v22, v152, v22
	v_fmac_f32_e32 v153, 0x3f575c64, v24
	v_add_f32_e32 v21, v25, v21
	v_fma_f32 v23, 0xbf75a155, v27, -v113
	v_add_f32_e32 v20, v135, v20
	v_fmac_f32_e32 v106, 0xbf75a155, v24
	v_mul_f32_e32 v134, 0xbf75a155, v28
	v_mul_f32_e32 v137, 0xbf75a155, v35
	v_fmac_f32_e32 v139, 0xbf4178ce, v116
	v_mul_f32_e32 v116, 0x3f0a6770, v116
	v_add_f32_e32 v142, v105, v104
	v_add_f32_e32 v104, v141, v110
	;; [unrolled: 1-line block ×3, first 2 shown]
	v_fma_f32 v126, 0xbe11bafb, v26, -v103
	v_add_f32_e32 v37, v99, v37
	v_add_f32_e32 v95, v107, v133
	;; [unrolled: 1-line block ×6, first 2 shown]
	v_fma_f32 v85, 0xbf75a155, v30, -v148
	v_add_f32_e32 v22, v153, v22
	v_fmac_f32_e32 v154, 0xbf75a155, v26
	v_add_f32_e32 v21, v23, v21
	v_fma_f32 v23, 0xbe11bafb, v30, -v138
	v_add_f32_e32 v20, v106, v20
	v_fmac_f32_e32 v103, 0xbe11bafb, v26
	v_fmamk_f32 v145, v35, 0x3f575c64, v116
	v_add_f32_e32 v100, v126, v110
	v_fma_f32 v108, 0x3f575c64, v28, -v128
	v_add_f32_e32 v37, v95, v37
	v_add_f32_e32 v95, v109, v137
	v_sub_f32_e32 v38, v134, v38
	v_add_f32_e32 v31, v33, v31
	v_add_f32_e32 v33, v85, v34
	v_fma_f32 v34, 0x3ed4b147, v35, -v146
	v_add_f32_e32 v22, v154, v22
	v_fmac_f32_e32 v156, 0x3ed4b147, v28
	v_add_f32_e32 v32, v39, v86
	v_add_f32_e32 v23, v23, v21
	v_fma_f32 v24, 0x3f575c64, v35, -v116
	v_add_f32_e32 v25, v103, v20
	v_fmac_f32_e32 v128, 0x3f575c64, v28
	v_add_f32_e32 v111, v145, v142
	v_add_f32_e32 v110, v108, v100
	;; [unrolled: 1-line block ×4, first 2 shown]
	v_lshl_add_u32 v26, v75, 3, v77
	v_add_f32_e32 v105, v139, v132
	v_add_f32_e32 v21, v34, v33
	;; [unrolled: 1-line block ×5, first 2 shown]
	ds_write_b64 v76, v[31:32]
	ds_write2_b64 v26, v[36:37], v[110:111] offset0:20 offset1:40
	ds_write2_b64 v26, v[104:105], v[123:124] offset0:60 offset1:80
	;; [unrolled: 1-line block ×5, first 2 shown]
.LBB0_5:
	s_or_b32 exec_lo, exec_lo, s0
	s_add_u32 s0, s12, 0x6e0
	s_addc_u32 s1, s13, 0
	s_waitcnt lgkmcnt(0)
	s_barrier
	buffer_gl0_inv
	s_clause 0x9
	global_load_dwordx2 v[73:74], v[73:74], off offset:1760
	global_load_dwordx2 v[85:86], v78, s[0:1] offset:176
	global_load_dwordx2 v[87:88], v78, s[0:1] offset:352
	;; [unrolled: 1-line block ×9, first 2 shown]
	ds_read2_b64 v[20:23], v76 offset1:22
	ds_read2_b64 v[24:27], v76 offset0:44 offset1:66
	ds_read2_b64 v[28:31], v76 offset0:88 offset1:110
	;; [unrolled: 1-line block ×4, first 2 shown]
	s_waitcnt vmcnt(9) lgkmcnt(4)
	v_mul_f32_e32 v78, v21, v74
	v_mul_f32_e32 v103, v20, v74
	s_waitcnt vmcnt(8)
	v_mul_f32_e32 v104, v23, v86
	v_mul_f32_e32 v74, v22, v86
	s_waitcnt vmcnt(7) lgkmcnt(3)
	v_mul_f32_e32 v105, v25, v88
	v_mul_f32_e32 v86, v24, v88
	s_waitcnt vmcnt(6)
	v_mul_f32_e32 v106, v27, v90
	v_mul_f32_e32 v88, v26, v90
	;; [unrolled: 6-line block ×5, first 2 shown]
	v_fma_f32 v102, v20, v73, -v78
	v_fmac_f32_e32 v103, v21, v73
	v_fma_f32 v73, v22, v85, -v104
	v_fmac_f32_e32 v74, v23, v85
	;; [unrolled: 2-line block ×10, first 2 shown]
	ds_write2_b64 v76, v[102:103], v[73:74] offset1:22
	ds_write2_b64 v76, v[85:86], v[87:88] offset0:44 offset1:66
	ds_write2_b64 v76, v[89:90], v[91:92] offset0:88 offset1:110
	;; [unrolled: 1-line block ×4, first 2 shown]
	s_waitcnt lgkmcnt(0)
	s_barrier
	buffer_gl0_inv
	ds_read2_b64 v[20:23], v76 offset1:22
	ds_read2_b64 v[24:27], v76 offset0:44 offset1:66
	ds_read2_b64 v[28:31], v76 offset0:88 offset1:110
	;; [unrolled: 1-line block ×4, first 2 shown]
	s_waitcnt lgkmcnt(0)
	s_barrier
	buffer_gl0_inv
	v_add_f32_e32 v73, v20, v24
	v_sub_f32_e32 v86, v24, v28
	v_add_f32_e32 v74, v28, v32
	v_sub_f32_e32 v78, v25, v37
	v_sub_f32_e32 v87, v36, v32
	v_add_f32_e32 v88, v24, v36
	v_sub_f32_e32 v89, v28, v24
	v_sub_f32_e32 v90, v32, v36
	v_add_f32_e32 v91, v21, v25
	v_add_f32_e32 v92, v29, v33
	v_sub_f32_e32 v94, v25, v29
	v_add_f32_e32 v96, v25, v37
	v_sub_f32_e32 v25, v29, v25
	v_sub_f32_e32 v97, v33, v37
	v_add_f32_e32 v98, v22, v26
	v_add_f32_e32 v99, v30, v34
	;; [unrolled: 1-line block ×5, first 2 shown]
	v_sub_f32_e32 v93, v28, v32
	v_sub_f32_e32 v100, v27, v39
	;; [unrolled: 1-line block ×4, first 2 shown]
	v_add_f32_e32 v104, v26, v38
	v_sub_f32_e32 v105, v30, v26
	v_sub_f32_e32 v26, v26, v38
	;; [unrolled: 1-line block ×5, first 2 shown]
	v_add_f32_e32 v28, v73, v28
	v_fma_f32 v73, -0.5, v74, v20
	v_add_f32_e32 v74, v86, v87
	v_fma_f32 v86, -0.5, v88, v20
	v_add_f32_e32 v20, v89, v90
	v_fma_f32 v87, -0.5, v92, v21
	v_fma_f32 v89, -0.5, v96, v21
	v_add_f32_e32 v21, v25, v97
	v_add_f32_e32 v25, v98, v30
	v_fma_f32 v30, -0.5, v99, v22
	v_add_f32_e32 v31, v107, v31
	v_fma_f32 v92, -0.5, v108, v23
	v_fmac_f32_e32 v23, -0.5, v112
	v_sub_f32_e32 v95, v37, v33
	v_sub_f32_e32 v103, v38, v34
	;; [unrolled: 1-line block ×5, first 2 shown]
	v_add_f32_e32 v25, v25, v34
	v_fmamk_f32 v34, v100, 0xbf737871, v30
	v_add_f32_e32 v31, v31, v35
	v_fmamk_f32 v35, v26, 0x3f737871, v92
	v_fma_f32 v22, -0.5, v104, v22
	v_fmamk_f32 v98, v109, 0xbf737871, v23
	v_fmac_f32_e32 v23, 0x3f737871, v109
	v_sub_f32_e32 v85, v29, v33
	v_sub_f32_e32 v24, v24, v36
	v_add_f32_e32 v29, v91, v29
	v_fmac_f32_e32 v92, 0xbf737871, v26
	v_add_f32_e32 v88, v94, v95
	v_add_f32_e32 v90, v102, v103
	v_add_f32_e32 v94, v110, v111
	v_add_f32_e32 v28, v28, v32
	v_fmamk_f32 v32, v78, 0xbf737871, v73
	v_fmac_f32_e32 v73, 0x3f737871, v78
	v_fmac_f32_e32 v34, 0xbf167918, v101
	v_fmac_f32_e32 v35, 0x3f167918, v109
	v_add_f32_e32 v27, v27, v113
	v_fmamk_f32 v97, v101, 0x3f737871, v22
	v_fmac_f32_e32 v22, 0xbf737871, v101
	v_fmac_f32_e32 v98, 0x3f167918, v26
	;; [unrolled: 1-line block ×3, first 2 shown]
	v_add_f32_e32 v29, v29, v33
	v_fmamk_f32 v33, v24, 0x3f737871, v87
	v_fmac_f32_e32 v87, 0xbf737871, v24
	v_fmac_f32_e32 v30, 0x3f737871, v100
	;; [unrolled: 1-line block ×7, first 2 shown]
	v_add_f32_e32 v91, v105, v106
	v_fmamk_f32 v95, v85, 0x3f737871, v86
	v_fmac_f32_e32 v86, 0xbf737871, v85
	v_fmamk_f32 v96, v93, 0xbf737871, v89
	v_fmac_f32_e32 v89, 0x3f737871, v93
	v_fmac_f32_e32 v97, 0xbf167918, v100
	;; [unrolled: 1-line block ×9, first 2 shown]
	v_add_f32_e32 v28, v28, v36
	v_fmac_f32_e32 v32, 0x3e9e377a, v74
	v_fmac_f32_e32 v73, 0x3e9e377a, v74
	v_mul_f32_e32 v36, 0xbf167918, v35
	v_mul_f32_e32 v74, 0x3f167918, v34
	v_fmac_f32_e32 v95, 0xbf167918, v78
	v_fmac_f32_e32 v86, 0x3f167918, v78
	v_add_f32_e32 v29, v29, v37
	v_fmac_f32_e32 v96, 0x3f167918, v24
	v_fmac_f32_e32 v89, 0xbf167918, v24
	v_add_f32_e32 v24, v25, v38
	v_fmac_f32_e32 v97, 0x3e9e377a, v91
	v_fmac_f32_e32 v22, 0x3e9e377a, v91
	v_mul_f32_e32 v37, 0xbf737871, v98
	v_mul_f32_e32 v38, 0xbf737871, v23
	v_mul_f32_e32 v78, 0x3e9e377a, v98
	v_mul_f32_e32 v85, 0xbe9e377a, v23
	v_add_f32_e32 v25, v31, v39
	v_fmac_f32_e32 v33, 0x3e9e377a, v88
	v_fmac_f32_e32 v87, 0x3e9e377a, v88
	;; [unrolled: 1-line block ×3, first 2 shown]
	v_mul_f32_e32 v39, 0xbf167918, v92
	v_mul_f32_e32 v88, 0xbf4f1bbd, v92
	v_fmac_f32_e32 v36, 0x3f4f1bbd, v34
	v_fmac_f32_e32 v74, 0x3f4f1bbd, v35
	;; [unrolled: 1-line block ×12, first 2 shown]
	v_add_f32_e32 v20, v28, v24
	v_add_f32_e32 v21, v29, v25
	;; [unrolled: 1-line block ×4, first 2 shown]
	v_sub_f32_e32 v26, v28, v24
	v_sub_f32_e32 v27, v29, v25
	v_add_f32_e32 v28, v95, v37
	v_add_f32_e32 v30, v86, v38
	;; [unrolled: 1-line block ×6, first 2 shown]
	v_sub_f32_e32 v32, v32, v36
	v_sub_f32_e32 v34, v95, v37
	;; [unrolled: 1-line block ×8, first 2 shown]
	ds_write_b128 v79, v[20:23]
	ds_write_b128 v79, v[28:31] offset:16
	ds_write_b128 v79, v[24:27] offset:32
	;; [unrolled: 1-line block ×4, first 2 shown]
	s_waitcnt lgkmcnt(0)
	s_barrier
	buffer_gl0_inv
	ds_read2_b64 v[36:39], v76 offset0:88 offset1:110
	ds_read2_b64 v[20:23], v76 offset0:132 offset1:154
	;; [unrolled: 1-line block ×3, first 2 shown]
	ds_read2_b64 v[85:88], v76 offset1:22
	ds_read2_b64 v[89:92], v76 offset0:44 offset1:66
	s_waitcnt lgkmcnt(0)
	s_barrier
	buffer_gl0_inv
	v_mul_f32_e32 v28, v70, v39
	v_mul_f32_e32 v29, v70, v38
	v_mul_f32_e32 v30, v64, v21
	v_mul_f32_e32 v31, v64, v20
	v_mul_f32_e32 v32, v66, v23
	v_mul_f32_e32 v33, v66, v22
	v_mul_f32_e32 v64, v68, v25
	v_mul_f32_e32 v34, v68, v24
	v_mul_f32_e32 v66, v62, v27
	v_mul_f32_e32 v35, v62, v26
	v_fmac_f32_e32 v28, v69, v38
	v_fma_f32 v29, v69, v39, -v29
	v_fmac_f32_e32 v30, v63, v20
	v_fma_f32 v20, v63, v21, -v31
	;; [unrolled: 2-line block ×5, first 2 shown]
	v_sub_f32_e32 v22, v85, v28
	v_sub_f32_e32 v23, v86, v29
	;; [unrolled: 1-line block ×10, first 2 shown]
	v_fma_f32 v20, v85, 2.0, -v22
	v_fma_f32 v21, v86, 2.0, -v23
	;; [unrolled: 1-line block ×10, first 2 shown]
	ds_write2_b64 v84, v[20:21], v[22:23] offset1:10
	ds_write2_b64 v83, v[32:33], v[34:35] offset1:10
	;; [unrolled: 1-line block ×5, first 2 shown]
	s_waitcnt lgkmcnt(0)
	s_barrier
	buffer_gl0_inv
	s_and_saveexec_b32 s0, vcc_lo
	s_cbranch_execz .LBB0_7
; %bb.6:
	ds_read2_b64 v[20:23], v76 offset1:20
	ds_read2_b64 v[32:35], v76 offset0:40 offset1:60
	ds_read2_b64 v[24:27], v76 offset0:80 offset1:100
	;; [unrolled: 1-line block ×4, first 2 shown]
	ds_read_b64 v[71:72], v76 offset:1600
.LBB0_7:
	s_or_b32 exec_lo, exec_lo, s0
	s_and_saveexec_b32 s0, vcc_lo
	s_cbranch_execz .LBB0_9
; %bb.8:
	s_waitcnt lgkmcnt(5)
	v_mul_f32_e32 v62, v13, v23
	s_waitcnt lgkmcnt(0)
	v_mul_f32_e32 v61, v19, v72
	v_mul_f32_e32 v19, v19, v71
	;; [unrolled: 1-line block ×4, first 2 shown]
	v_fmac_f32_e32 v62, v12, v22
	v_fmac_f32_e32 v61, v18, v71
	v_mul_f32_e32 v22, v15, v33
	v_fma_f32 v18, v18, v72, -v19
	v_fma_f32 v19, v12, v23, -v13
	v_fmac_f32_e32 v63, v16, v38
	v_sub_f32_e32 v13, v62, v61
	v_fmac_f32_e32 v22, v14, v32
	v_mul_f32_e32 v17, v17, v38
	v_mul_f32_e32 v15, v15, v32
	v_add_f32_e32 v32, v18, v19
	v_mul_f32_e32 v23, 0xbf7d64f0, v13
	v_sub_f32_e32 v12, v22, v63
	v_fma_f32 v16, v16, v39, -v17
	v_fma_f32 v14, v14, v33, -v15
	v_mul_f32_e32 v38, v5, v35
	v_fmamk_f32 v15, v32, 0xbe11bafb, v23
	v_mul_f32_e32 v17, 0x3e903f40, v12
	v_mul_f32_e32 v39, v11, v37
	v_add_f32_e32 v33, v16, v14
	v_mul_f32_e32 v5, v5, v34
	v_add_f32_e32 v15, v21, v15
	v_fmac_f32_e32 v38, v4, v34
	v_fmac_f32_e32 v39, v10, v36
	v_fmamk_f32 v64, v33, 0xbf75a155, v17
	v_mul_f32_e32 v11, v11, v36
	v_mul_f32_e32 v34, v7, v25
	;; [unrolled: 1-line block ×3, first 2 shown]
	v_fma_f32 v35, v4, v35, -v5
	v_mul_f32_e32 v4, v9, v30
	v_sub_f32_e32 v65, v38, v39
	v_fma_f32 v37, v10, v37, -v11
	v_fmac_f32_e32 v34, v6, v24
	v_fmac_f32_e32 v36, v8, v30
	v_mul_f32_e32 v5, v7, v24
	v_fma_f32 v30, v8, v31, -v4
	v_add_f32_e32 v4, v64, v15
	v_mul_f32_e32 v31, v1, v27
	v_mul_f32_e32 v64, v3, v29
	;; [unrolled: 1-line block ×3, first 2 shown]
	v_add_f32_e32 v10, v37, v35
	v_sub_f32_e32 v24, v34, v36
	v_fma_f32 v25, v6, v25, -v5
	v_fmac_f32_e32 v31, v0, v26
	v_sub_f32_e32 v66, v19, v18
	v_fmac_f32_e32 v64, v2, v28
	v_mul_f32_e32 v3, v3, v28
	v_mul_f32_e32 v1, v1, v26
	v_fmamk_f32 v5, v10, 0x3ed4b147, v9
	v_mul_f32_e32 v6, 0xbf0a6770, v24
	v_add_f32_e32 v15, v30, v25
	v_add_f32_e32 v26, v61, v62
	v_mul_f32_e32 v8, 0xbf7d64f0, v66
	v_sub_f32_e32 v28, v31, v64
	v_sub_f32_e32 v67, v14, v16
	v_fma_f32 v29, v2, v29, -v3
	v_fma_f32 v27, v0, v27, -v1
	v_add_f32_e32 v4, v5, v4
	v_fmamk_f32 v5, v15, 0x3f575c64, v6
	v_fma_f32 v0, 0xbe11bafb, v26, -v8
	v_add_f32_e32 v68, v63, v22
	v_mul_f32_e32 v11, 0x3e903f40, v67
	v_mul_f32_e32 v69, 0xbf4178ce, v28
	v_sub_f32_e32 v70, v35, v37
	v_add_f32_e32 v71, v29, v27
	v_add_f32_e32 v4, v5, v4
	;; [unrolled: 1-line block ×3, first 2 shown]
	v_fma_f32 v1, 0xbf75a155, v68, -v11
	v_add_f32_e32 v72, v39, v38
	v_mul_f32_e32 v73, 0x3f68dda4, v70
	v_fmamk_f32 v2, v71, 0xbf27a4f4, v69
	v_sub_f32_e32 v74, v25, v30
	v_add_f32_e32 v0, v1, v0
	v_add_f32_e32 v78, v36, v34
	v_fma_f32 v3, 0x3ed4b147, v72, -v73
	v_add_f32_e32 v1, v2, v4
	v_mul_f32_e32 v2, 0xbe903f40, v13
	v_mul_f32_e32 v79, 0xbf0a6770, v74
	v_sub_f32_e32 v80, v27, v29
	v_add_f32_e32 v0, v3, v0
	v_mul_f32_e32 v4, 0x3f0a6770, v12
	v_fmamk_f32 v3, v32, 0xbf75a155, v2
	v_fma_f32 v5, 0x3f575c64, v78, -v79
	v_add_f32_e32 v81, v64, v31
	v_mul_f32_e32 v82, 0xbf4178ce, v80
	v_fmamk_f32 v7, v33, 0x3f575c64, v4
	v_add_f32_e32 v3, v21, v3
	v_mul_f32_e32 v83, 0xbf4178ce, v65
	v_add_f32_e32 v0, v5, v0
	v_fma_f32 v5, 0xbf27a4f4, v81, -v82
	v_mul_f32_e32 v84, 0xbe903f40, v66
	v_add_f32_e32 v3, v7, v3
	v_fmamk_f32 v7, v10, 0xbf27a4f4, v83
	v_mul_f32_e32 v85, 0x3f68dda4, v24
	v_add_f32_e32 v0, v5, v0
	v_fma_f32 v5, 0xbf75a155, v26, -v84
	v_mul_f32_e32 v86, 0x3f0a6770, v67
	v_add_f32_e32 v3, v7, v3
	v_fmamk_f32 v7, v15, 0x3ed4b147, v85
	;; [unrolled: 6-line block ×3, first 2 shown]
	v_fma_f32 v2, 0xbf75a155, v32, -v2
	v_add_f32_e32 v5, v88, v5
	v_fma_f32 v88, 0xbf27a4f4, v72, -v89
	v_mul_f32_e32 v90, 0x3f68dda4, v74
	v_add_f32_e32 v3, v7, v3
	v_add_f32_e32 v2, v21, v2
	v_fma_f32 v4, 0x3f575c64, v33, -v4
	v_add_f32_e32 v5, v88, v5
	v_fma_f32 v7, 0x3ed4b147, v78, -v90
	v_mul_f32_e32 v88, 0xbf7d64f0, v80
	v_fmac_f32_e32 v84, 0xbf75a155, v26
	v_add_f32_e32 v2, v4, v2
	v_fma_f32 v4, 0xbf27a4f4, v10, -v83
	v_add_f32_e32 v5, v7, v5
	v_fma_f32 v7, 0xbe11bafb, v81, -v88
	v_add_f32_e32 v83, v20, v84
	v_fmac_f32_e32 v86, 0x3f575c64, v68
	v_add_f32_e32 v4, v4, v2
	v_fma_f32 v84, 0x3ed4b147, v15, -v85
	v_add_f32_e32 v2, v7, v5
	v_mul_f32_e32 v85, 0xbf27a4f4, v32
	v_add_f32_e32 v5, v86, v83
	v_fmac_f32_e32 v89, 0xbf27a4f4, v72
	v_add_f32_e32 v4, v84, v4
	v_fma_f32 v7, 0xbe11bafb, v71, -v87
	v_fmamk_f32 v83, v13, 0x3f4178ce, v85
	v_mul_f32_e32 v84, 0xbe11bafb, v33
	v_add_f32_e32 v86, v89, v5
	v_fmac_f32_e32 v90, 0x3ed4b147, v78
	v_add_f32_e32 v5, v7, v4
	v_add_f32_e32 v4, v21, v83
	v_fmamk_f32 v7, v12, 0xbf7d64f0, v84
	v_mul_f32_e32 v83, 0x3f575c64, v10
	v_add_f32_e32 v86, v90, v86
	v_fmac_f32_e32 v88, 0xbe11bafb, v81
	v_mul_f32_e32 v87, 0xbf4178ce, v66
	v_add_f32_e32 v7, v7, v4
	v_fmamk_f32 v89, v65, 0x3f0a6770, v83
	v_mul_f32_e32 v90, 0xbf75a155, v15
	v_add_f32_e32 v4, v88, v86
	v_fmamk_f32 v86, v26, 0xbf27a4f4, v87
	;; [unrolled: 3-line block ×5, first 2 shown]
	v_fma_f32 v23, 0xbe11bafb, v32, -v23
	v_add_f32_e32 v86, v92, v86
	v_fmamk_f32 v92, v72, 0x3f575c64, v93
	v_mul_f32_e32 v94, 0xbe903f40, v74
	v_fmac_f32_e32 v8, 0xbe11bafb, v26
	v_add_f32_e32 v7, v89, v7
	v_add_f32_e32 v23, v21, v23
	v_fma_f32 v17, 0xbf75a155, v33, -v17
	v_add_f32_e32 v86, v92, v86
	v_fmamk_f32 v89, v78, 0xbf75a155, v94
	v_mul_f32_e32 v92, 0x3f68dda4, v80
	v_add_f32_e32 v8, v20, v8
	v_fmac_f32_e32 v11, 0xbf75a155, v68
	v_add_f32_e32 v17, v17, v23
	v_fma_f32 v9, 0x3ed4b147, v10, -v9
	v_add_f32_e32 v23, v89, v86
	v_fmamk_f32 v86, v81, 0x3ed4b147, v92
	v_mul_f32_e32 v89, 0x3ed4b147, v32
	v_add_f32_e32 v8, v11, v8
	v_fmac_f32_e32 v73, 0x3ed4b147, v72
	;; [unrolled: 7-line block ×3, first 2 shown]
	v_add_f32_e32 v9, v17, v9
	v_fma_f32 v17, 0xbf27a4f4, v71, -v69
	v_add_f32_e32 v11, v21, v11
	v_fmamk_f32 v69, v12, 0x3f4178ce, v23
	v_mul_f32_e32 v73, 0xbf75a155, v10
	v_add_f32_e32 v8, v79, v8
	v_mul_f32_e32 v79, 0xbf68dda4, v66
	v_add_f32_e32 v9, v17, v9
	v_add_f32_e32 v11, v69, v11
	v_fmamk_f32 v17, v65, 0xbe903f40, v73
	v_mul_f32_e32 v69, 0xbe11bafb, v15
	v_fmac_f32_e32 v82, 0xbf27a4f4, v81
	v_fmamk_f32 v86, v26, 0x3ed4b147, v79
	v_mul_f32_e32 v95, 0xbf4178ce, v67
	v_add_f32_e32 v11, v17, v11
	v_fmamk_f32 v17, v24, 0xbf7d64f0, v69
	v_add_f32_e32 v8, v82, v8
	v_add_f32_e32 v82, v20, v86
	v_fmamk_f32 v86, v68, 0xbf27a4f4, v95
	v_mul_f32_e32 v96, 0x3e903f40, v70
	v_add_f32_e32 v11, v17, v11
	v_mul_f32_e32 v32, 0x3f575c64, v32
	v_mul_f32_e32 v33, 0x3ed4b147, v33
	v_add_f32_e32 v17, v86, v82
	v_fmamk_f32 v82, v72, 0xbf75a155, v96
	v_mul_f32_e32 v86, 0x3f7d64f0, v74
	v_fmamk_f32 v99, v13, 0x3f0a6770, v32
	v_mul_f32_e32 v102, 0xbe11bafb, v10
	v_mul_f32_e32 v100, 0x3f0a6770, v80
	v_add_f32_e32 v17, v82, v17
	v_fmamk_f32 v82, v78, 0xbe11bafb, v86
	v_add_f32_e32 v99, v21, v99
	v_fmamk_f32 v101, v12, 0x3f68dda4, v33
	v_mul_f32_e32 v66, 0xbf0a6770, v66
	v_fmac_f32_e32 v85, 0xbf4178ce, v13
	v_add_f32_e32 v10, v82, v17
	v_add_f32_e32 v17, v19, v21
	v_fmamk_f32 v19, v81, 0x3f575c64, v100
	v_add_f32_e32 v82, v101, v99
	v_fmamk_f32 v99, v65, 0x3f7d64f0, v102
	v_fmac_f32_e32 v84, 0x3f7d64f0, v12
	v_add_f32_e32 v14, v14, v17
	v_add_f32_e32 v10, v19, v10
	v_fmamk_f32 v19, v26, 0x3f575c64, v66
	v_add_f32_e32 v17, v99, v82
	v_mul_f32_e32 v82, 0xbf27a4f4, v15
	v_add_f32_e32 v14, v35, v14
	v_add_f32_e32 v15, v20, v62
	v_mul_f32_e32 v35, 0xbf68dda4, v67
	v_add_f32_e32 v19, v20, v19
	v_fmamk_f32 v62, v24, 0x3f4178ce, v82
	v_add_f32_e32 v14, v25, v14
	v_add_f32_e32 v15, v22, v15
	v_fmamk_f32 v22, v68, 0x3ed4b147, v35
	v_mul_f32_e32 v25, 0xbf7d64f0, v70
	v_add_f32_e32 v17, v62, v17
	v_add_f32_e32 v14, v27, v14
	v_mul_f32_e32 v27, 0xbf4178ce, v74
	v_add_f32_e32 v19, v22, v19
	v_fmamk_f32 v22, v72, 0xbe11bafb, v25
	v_add_f32_e32 v15, v38, v15
	v_add_f32_e32 v14, v29, v14
	v_mul_f32_e32 v29, 0xbf75a155, v71
	v_fmac_f32_e32 v89, 0xbf68dda4, v13
	v_add_f32_e32 v19, v22, v19
	v_fmamk_f32 v22, v78, 0xbf27a4f4, v27
	v_add_f32_e32 v14, v30, v14
	v_mul_f32_e32 v30, 0xbe903f40, v80
	v_add_f32_e32 v15, v34, v15
	v_fmac_f32_e32 v83, 0xbf0a6770, v65
	v_add_f32_e32 v19, v22, v19
	v_add_f32_e32 v14, v37, v14
	v_fmamk_f32 v22, v81, 0xbf75a155, v30
	v_add_f32_e32 v15, v31, v15
	v_fmamk_f32 v31, v28, 0x3e903f40, v29
	v_fmac_f32_e32 v23, 0xbf4178ce, v12
	v_add_f32_e32 v16, v16, v14
	v_add_f32_e32 v14, v22, v19
	v_fma_f32 v19, 0xbf27a4f4, v26, -v87
	v_add_f32_e32 v34, v64, v15
	v_add_f32_e32 v15, v31, v17
	;; [unrolled: 1-line block ×5, first 2 shown]
	v_fma_f32 v22, 0xbe11bafb, v68, -v88
	v_add_f32_e32 v31, v36, v34
	v_fmac_f32_e32 v90, 0xbe903f40, v24
	v_add_f32_e32 v18, v84, v18
	v_fmac_f32_e32 v91, 0x3f68dda4, v28
	v_add_f32_e32 v19, v22, v19
	v_fma_f32 v22, 0x3f575c64, v72, -v93
	v_add_f32_e32 v16, v39, v31
	v_add_f32_e32 v31, v21, v89
	;; [unrolled: 1-line block ×3, first 2 shown]
	v_fmac_f32_e32 v32, 0xbf0a6770, v13
	v_add_f32_e32 v19, v22, v19
	v_fma_f32 v22, 0xbf75a155, v78, -v94
	v_add_f32_e32 v23, v23, v31
	v_add_f32_e32 v18, v90, v18
	v_fma_f32 v31, 0x3ed4b147, v81, -v92
	v_fma_f32 v13, 0x3f575c64, v26, -v66
	v_add_f32_e32 v22, v22, v19
	v_add_f32_e32 v21, v21, v32
	;; [unrolled: 1-line block ×3, first 2 shown]
	v_fmac_f32_e32 v33, 0xbf68dda4, v12
	v_add_f32_e32 v12, v20, v13
	v_add_f32_e32 v18, v31, v22
	v_fma_f32 v22, 0x3ed4b147, v26, -v79
	v_fma_f32 v26, 0xbf27a4f4, v68, -v95
	;; [unrolled: 1-line block ×3, first 2 shown]
	v_fmac_f32_e32 v73, 0x3e903f40, v65
	v_add_f32_e32 v21, v33, v21
	v_add_f32_e32 v22, v20, v22
	v_fmac_f32_e32 v102, 0xbf7d64f0, v65
	v_add_f32_e32 v12, v13, v12
	v_fma_f32 v13, 0xbe11bafb, v72, -v25
	v_mul_f32_e32 v97, 0x3f575c64, v71
	v_add_f32_e32 v20, v26, v22
	v_fma_f32 v22, 0xbf75a155, v72, -v96
	v_add_f32_e32 v23, v73, v23
	v_fmac_f32_e32 v69, 0x3f7d64f0, v24
	v_add_f32_e32 v16, v63, v16
	v_add_f32_e32 v21, v102, v21
	;; [unrolled: 1-line block ×3, first 2 shown]
	v_fma_f32 v22, 0xbe11bafb, v78, -v86
	v_fmac_f32_e32 v82, 0xbf4178ce, v24
	v_add_f32_e32 v12, v13, v12
	v_fma_f32 v13, 0xbf27a4f4, v78, -v27
	v_fmamk_f32 v98, v28, 0xbf0a6770, v97
	v_add_f32_e32 v23, v69, v23
	v_fmac_f32_e32 v97, 0x3f0a6770, v28
	v_add_f32_e32 v16, v61, v16
	v_add_f32_e32 v20, v22, v20
	v_fma_f32 v22, 0x3f575c64, v81, -v100
	v_add_f32_e32 v21, v82, v21
	v_fmac_f32_e32 v29, 0xbe903f40, v28
	v_add_f32_e32 v24, v13, v12
	v_fma_f32 v25, 0xbf75a155, v81, -v30
	v_add_f32_e32 v11, v98, v11
	v_add_f32_e32 v13, v97, v23
	v_lshl_add_u32 v23, v75, 3, v77
	v_add_f32_e32 v12, v22, v20
	v_add_f32_e32 v21, v29, v21
	;; [unrolled: 1-line block ×3, first 2 shown]
	ds_write_b64 v76, v[16:17]
	ds_write2_b64 v23, v[14:15], v[10:11] offset0:20 offset1:40
	ds_write2_b64 v23, v[8:9], v[6:7] offset0:60 offset1:80
	;; [unrolled: 1-line block ×5, first 2 shown]
.LBB0_9:
	s_or_b32 exec_lo, exec_lo, s0
	s_waitcnt lgkmcnt(0)
	s_barrier
	buffer_gl0_inv
	ds_read2_b64 v[0:3], v76 offset1:22
	v_mad_u64_u32 v[12:13], null, s10, v40, 0
	v_mad_u64_u32 v[14:15], null, s8, v75, 0
	ds_read2_b64 v[4:7], v76 offset0:44 offset1:66
	ds_read2_b64 v[8:11], v76 offset0:88 offset1:110
	s_mov_b32 s0, 0x29e4129e
	s_mov_b32 s1, 0x3f729e41
	s_mul_i32 s5, s9, 0xb0
	s_mul_hi_u32 s6, s8, 0xb0
	s_mul_i32 s4, s8, 0xb0
	s_add_i32 s6, s6, s5
	s_waitcnt lgkmcnt(2)
	v_mul_f32_e32 v18, v58, v1
	v_mul_f32_e32 v16, v58, v0
	;; [unrolled: 1-line block ×4, first 2 shown]
	s_waitcnt lgkmcnt(1)
	v_mul_f32_e32 v27, v52, v4
	v_fmac_f32_e32 v18, v57, v0
	v_fma_f32 v0, v57, v1, -v16
	v_fmac_f32_e32 v21, v59, v2
	v_fma_f32 v1, v59, v3, -v17
	v_mad_u64_u32 v[16:17], null, s11, v40, v[13:14]
	v_cvt_f64_f32_e32 v[17:18], v18
	v_cvt_f64_f32_e32 v[19:20], v0
	;; [unrolled: 1-line block ×4, first 2 shown]
	v_mul_f32_e32 v28, v56, v7
	v_mul_f32_e32 v29, v56, v6
	v_mad_u64_u32 v[25:26], null, s9, v75, v[15:16]
	v_mul_f32_e32 v26, v52, v5
	v_mov_b32_e32 v13, v16
	v_fma_f32 v16, v51, v5, -v27
	v_fmac_f32_e32 v28, v55, v6
	v_fma_f32 v27, v55, v7, -v29
	v_fmac_f32_e32 v26, v51, v4
	v_mov_b32_e32 v15, v25
	v_lshlrev_b64 v[4:5], 3, v[12:13]
	ds_read2_b64 v[0:3], v76 offset0:132 offset1:154
	s_waitcnt lgkmcnt(1)
	v_mul_f32_e32 v32, v54, v9
	v_cvt_f64_f32_e32 v[12:13], v26
	v_lshlrev_b64 v[6:7], 3, v[14:15]
	v_cvt_f64_f32_e32 v[14:15], v16
	v_add_co_u32 v4, vcc_lo, s2, v4
	v_mul_f64 v[16:17], v[17:18], s[0:1]
	v_mul_f64 v[18:19], v[19:20], s[0:1]
	;; [unrolled: 1-line block ×3, first 2 shown]
	v_cvt_f64_f32_e32 v[26:27], v27
	v_add_co_ci_u32_e32 v5, vcc_lo, s3, v5, vcc_lo
	v_mul_f64 v[22:23], v[23:24], s[0:1]
	v_cvt_f64_f32_e32 v[24:25], v28
	v_add_co_u32 v28, vcc_lo, v4, v6
	v_mul_f32_e32 v4, v54, v8
	v_add_co_ci_u32_e32 v29, vcc_lo, v5, v7, vcc_lo
	v_fmac_f32_e32 v32, v53, v8
	s_waitcnt lgkmcnt(0)
	v_mul_f32_e32 v34, v42, v3
	v_fma_f32 v33, v53, v9, -v4
	ds_read2_b64 v[4:7], v76 offset0:176 offset1:198
	v_mul_f64 v[12:13], v[12:13], s[0:1]
	v_add_co_u32 v30, vcc_lo, v28, s4
	v_fmac_f32_e32 v34, v41, v2
	v_mul_f32_e32 v2, v42, v2
	v_cvt_f32_f64_e32 v16, v[16:17]
	v_cvt_f32_f64_e32 v17, v[18:19]
	;; [unrolled: 1-line block ×3, first 2 shown]
	v_mul_f64 v[20:21], v[26:27], s[0:1]
	v_mul_f32_e32 v26, v44, v11
	v_mul_f32_e32 v27, v44, v10
	v_cvt_f32_f64_e32 v19, v[22:23]
	v_mul_f64 v[8:9], v[24:25], s[0:1]
	v_cvt_f64_f32_e32 v[22:23], v32
	v_cvt_f64_f32_e32 v[24:25], v33
	v_mul_f32_e32 v32, v46, v1
	v_mul_f32_e32 v33, v46, v0
	v_mul_f64 v[14:15], v[14:15], s[0:1]
	v_fmac_f32_e32 v26, v43, v10
	s_waitcnt lgkmcnt(0)
	v_mul_f32_e32 v36, v48, v5
	v_mul_f32_e32 v37, v48, v4
	v_fma_f32 v10, v43, v11, -v27
	v_mul_f32_e32 v38, v50, v7
	v_mul_f32_e32 v39, v50, v6
	v_fmac_f32_e32 v32, v45, v0
	v_fma_f32 v33, v45, v1, -v33
	v_fma_f32 v2, v41, v3, -v2
	v_fmac_f32_e32 v36, v47, v4
	v_fma_f32 v37, v47, v5, -v37
	v_cvt_f64_f32_e32 v[0:1], v26
	v_cvt_f64_f32_e32 v[10:11], v10
	v_fmac_f32_e32 v38, v49, v6
	v_fma_f32 v39, v49, v7, -v39
	v_cvt_f64_f32_e32 v[26:27], v32
	v_cvt_f64_f32_e32 v[32:33], v33
	;; [unrolled: 1-line block ×8, first 2 shown]
	v_add_co_ci_u32_e32 v31, vcc_lo, s6, v29, vcc_lo
	global_store_dwordx2 v[28:29], v[16:17], off
	global_store_dwordx2 v[30:31], v[18:19], off
	v_cvt_f32_f64_e32 v12, v[12:13]
	v_cvt_f32_f64_e32 v13, v[14:15]
	v_mul_f64 v[14:15], v[22:23], s[0:1]
	v_mul_f64 v[16:17], v[24:25], s[0:1]
	v_cvt_f32_f64_e32 v8, v[8:9]
	v_mul_f64 v[0:1], v[0:1], s[0:1]
	v_mul_f64 v[10:11], v[10:11], s[0:1]
	v_cvt_f32_f64_e32 v9, v[20:21]
	v_add_co_u32 v18, vcc_lo, v30, s4
	v_mul_f64 v[20:21], v[26:27], s[0:1]
	v_mul_f64 v[22:23], v[32:33], s[0:1]
	v_mul_f64 v[24:25], v[34:35], s[0:1]
	v_mul_f64 v[2:3], v[2:3], s[0:1]
	v_mul_f64 v[4:5], v[4:5], s[0:1]
	v_mul_f64 v[6:7], v[6:7], s[0:1]
	v_mul_f64 v[26:27], v[36:37], s[0:1]
	v_mul_f64 v[28:29], v[38:39], s[0:1]
	v_add_co_ci_u32_e32 v19, vcc_lo, s6, v31, vcc_lo
	v_add_co_u32 v30, vcc_lo, v18, s4
	v_add_co_ci_u32_e32 v31, vcc_lo, s6, v19, vcc_lo
	v_cvt_f32_f64_e32 v14, v[14:15]
	v_cvt_f32_f64_e32 v15, v[16:17]
	v_add_co_u32 v16, vcc_lo, v30, s4
	v_add_co_ci_u32_e32 v17, vcc_lo, s6, v31, vcc_lo
	v_cvt_f32_f64_e32 v0, v[0:1]
	v_cvt_f32_f64_e32 v1, v[10:11]
	;; [unrolled: 4-line block ×3, first 2 shown]
	v_cvt_f32_f64_e32 v22, v[24:25]
	v_cvt_f32_f64_e32 v23, v[2:3]
	;; [unrolled: 1-line block ×6, first 2 shown]
	v_add_co_u32 v6, vcc_lo, v10, s4
	v_add_co_ci_u32_e32 v7, vcc_lo, s6, v11, vcc_lo
	global_store_dwordx2 v[18:19], v[12:13], off
	v_add_co_u32 v12, vcc_lo, v6, s4
	v_add_co_ci_u32_e32 v13, vcc_lo, s6, v7, vcc_lo
	global_store_dwordx2 v[30:31], v[8:9], off
	;; [unrolled: 3-line block ×4, first 2 shown]
	global_store_dwordx2 v[6:7], v[20:21], off
	global_store_dwordx2 v[12:13], v[22:23], off
	;; [unrolled: 1-line block ×4, first 2 shown]
.LBB0_10:
	s_endpgm
	.section	.rodata,"a",@progbits
	.p2align	6, 0x0
	.amdhsa_kernel bluestein_single_back_len220_dim1_sp_op_CI_CI
		.amdhsa_group_segment_fixed_size 8800
		.amdhsa_private_segment_fixed_size 0
		.amdhsa_kernarg_size 104
		.amdhsa_user_sgpr_count 6
		.amdhsa_user_sgpr_private_segment_buffer 1
		.amdhsa_user_sgpr_dispatch_ptr 0
		.amdhsa_user_sgpr_queue_ptr 0
		.amdhsa_user_sgpr_kernarg_segment_ptr 1
		.amdhsa_user_sgpr_dispatch_id 0
		.amdhsa_user_sgpr_flat_scratch_init 0
		.amdhsa_user_sgpr_private_segment_size 0
		.amdhsa_wavefront_size32 1
		.amdhsa_uses_dynamic_stack 0
		.amdhsa_system_sgpr_private_segment_wavefront_offset 0
		.amdhsa_system_sgpr_workgroup_id_x 1
		.amdhsa_system_sgpr_workgroup_id_y 0
		.amdhsa_system_sgpr_workgroup_id_z 0
		.amdhsa_system_sgpr_workgroup_info 0
		.amdhsa_system_vgpr_workitem_id 0
		.amdhsa_next_free_vgpr 157
		.amdhsa_next_free_sgpr 20
		.amdhsa_reserve_vcc 1
		.amdhsa_reserve_flat_scratch 0
		.amdhsa_float_round_mode_32 0
		.amdhsa_float_round_mode_16_64 0
		.amdhsa_float_denorm_mode_32 3
		.amdhsa_float_denorm_mode_16_64 3
		.amdhsa_dx10_clamp 1
		.amdhsa_ieee_mode 1
		.amdhsa_fp16_overflow 0
		.amdhsa_workgroup_processor_mode 1
		.amdhsa_memory_ordered 1
		.amdhsa_forward_progress 0
		.amdhsa_shared_vgpr_count 0
		.amdhsa_exception_fp_ieee_invalid_op 0
		.amdhsa_exception_fp_denorm_src 0
		.amdhsa_exception_fp_ieee_div_zero 0
		.amdhsa_exception_fp_ieee_overflow 0
		.amdhsa_exception_fp_ieee_underflow 0
		.amdhsa_exception_fp_ieee_inexact 0
		.amdhsa_exception_int_div_zero 0
	.end_amdhsa_kernel
	.text
.Lfunc_end0:
	.size	bluestein_single_back_len220_dim1_sp_op_CI_CI, .Lfunc_end0-bluestein_single_back_len220_dim1_sp_op_CI_CI
                                        ; -- End function
	.section	.AMDGPU.csdata,"",@progbits
; Kernel info:
; codeLenInByte = 9996
; NumSgprs: 22
; NumVgprs: 157
; ScratchSize: 0
; MemoryBound: 0
; FloatMode: 240
; IeeeMode: 1
; LDSByteSize: 8800 bytes/workgroup (compile time only)
; SGPRBlocks: 2
; VGPRBlocks: 19
; NumSGPRsForWavesPerEU: 22
; NumVGPRsForWavesPerEU: 157
; Occupancy: 6
; WaveLimiterHint : 1
; COMPUTE_PGM_RSRC2:SCRATCH_EN: 0
; COMPUTE_PGM_RSRC2:USER_SGPR: 6
; COMPUTE_PGM_RSRC2:TRAP_HANDLER: 0
; COMPUTE_PGM_RSRC2:TGID_X_EN: 1
; COMPUTE_PGM_RSRC2:TGID_Y_EN: 0
; COMPUTE_PGM_RSRC2:TGID_Z_EN: 0
; COMPUTE_PGM_RSRC2:TIDIG_COMP_CNT: 0
	.text
	.p2alignl 6, 3214868480
	.fill 48, 4, 3214868480
	.type	__hip_cuid_b742adebf65ddb4d,@object ; @__hip_cuid_b742adebf65ddb4d
	.section	.bss,"aw",@nobits
	.globl	__hip_cuid_b742adebf65ddb4d
__hip_cuid_b742adebf65ddb4d:
	.byte	0                               ; 0x0
	.size	__hip_cuid_b742adebf65ddb4d, 1

	.ident	"AMD clang version 19.0.0git (https://github.com/RadeonOpenCompute/llvm-project roc-6.4.0 25133 c7fe45cf4b819c5991fe208aaa96edf142730f1d)"
	.section	".note.GNU-stack","",@progbits
	.addrsig
	.addrsig_sym __hip_cuid_b742adebf65ddb4d
	.amdgpu_metadata
---
amdhsa.kernels:
  - .args:
      - .actual_access:  read_only
        .address_space:  global
        .offset:         0
        .size:           8
        .value_kind:     global_buffer
      - .actual_access:  read_only
        .address_space:  global
        .offset:         8
        .size:           8
        .value_kind:     global_buffer
      - .actual_access:  read_only
        .address_space:  global
        .offset:         16
        .size:           8
        .value_kind:     global_buffer
      - .actual_access:  read_only
        .address_space:  global
        .offset:         24
        .size:           8
        .value_kind:     global_buffer
      - .actual_access:  read_only
        .address_space:  global
        .offset:         32
        .size:           8
        .value_kind:     global_buffer
      - .offset:         40
        .size:           8
        .value_kind:     by_value
      - .address_space:  global
        .offset:         48
        .size:           8
        .value_kind:     global_buffer
      - .address_space:  global
        .offset:         56
        .size:           8
        .value_kind:     global_buffer
      - .address_space:  global
        .offset:         64
        .size:           8
        .value_kind:     global_buffer
      - .address_space:  global
        .offset:         72
        .size:           8
        .value_kind:     global_buffer
      - .offset:         80
        .size:           4
        .value_kind:     by_value
      - .address_space:  global
        .offset:         88
        .size:           8
        .value_kind:     global_buffer
      - .address_space:  global
        .offset:         96
        .size:           8
        .value_kind:     global_buffer
    .group_segment_fixed_size: 8800
    .kernarg_segment_align: 8
    .kernarg_segment_size: 104
    .language:       OpenCL C
    .language_version:
      - 2
      - 0
    .max_flat_workgroup_size: 110
    .name:           bluestein_single_back_len220_dim1_sp_op_CI_CI
    .private_segment_fixed_size: 0
    .sgpr_count:     22
    .sgpr_spill_count: 0
    .symbol:         bluestein_single_back_len220_dim1_sp_op_CI_CI.kd
    .uniform_work_group_size: 1
    .uses_dynamic_stack: false
    .vgpr_count:     157
    .vgpr_spill_count: 0
    .wavefront_size: 32
    .workgroup_processor_mode: 1
amdhsa.target:   amdgcn-amd-amdhsa--gfx1030
amdhsa.version:
  - 1
  - 2
...

	.end_amdgpu_metadata
